;; amdgpu-corpus repo=zjin-lcf/HeCBench kind=compiled arch=gfx906 opt=O3
	.amdgcn_target "amdgcn-amd-amdhsa--gfx906"
	.amdhsa_code_object_version 6
	.section	.text._Z13sigmas_kernelIifEvPKT0_PS0_ffifT_i,"axG",@progbits,_Z13sigmas_kernelIifEvPKT0_PS0_ffifT_i,comdat
	.protected	_Z13sigmas_kernelIifEvPKT0_PS0_ffifT_i ; -- Begin function _Z13sigmas_kernelIifEvPKT0_PS0_ffifT_i
	.globl	_Z13sigmas_kernelIifEvPKT0_PS0_ffifT_i
	.p2align	8
	.type	_Z13sigmas_kernelIifEvPKT0_PS0_ffifT_i,@function
_Z13sigmas_kernelIifEvPKT0_PS0_ffifT_i: ; @_Z13sigmas_kernelIifEvPKT0_PS0_ffifT_i
; %bb.0:
	s_load_dword s0, s[4:5], 0x34
	s_load_dwordx4 s[8:11], s[4:5], 0x14
	s_waitcnt lgkmcnt(0)
	s_and_b32 s0, s0, 0xffff
	s_mul_i32 s6, s6, s0
	v_add_u32_e32 v0, s6, v0
	v_cmp_gt_i32_e32 vcc, s11, v0
	s_and_saveexec_b64 s[0:1], vcc
	s_cbranch_execz .LBB0_25
; %bb.1:
	s_load_dword s11, s[4:5], 0x24
	s_cmp_lt_i32 s9, 1
	s_cbranch_scc1 .LBB0_25
; %bb.2:
	s_waitcnt lgkmcnt(0)
	v_mul_lo_u32 v0, v0, s11
	s_load_dwordx4 s[0:3], s[4:5], 0x0
	s_cmp_gt_i32 s11, 0
	s_mov_b32 s14, 0
	v_ashrrev_i32_e32 v1, 31, v0
	v_lshlrev_b64 v[2:3], 2, v[0:1]
	s_waitcnt lgkmcnt(0)
	v_mov_b32_e32 v1, s1
	v_add_co_u32_e32 v0, vcc, s0, v2
	v_addc_co_u32_e32 v1, vcc, v1, v3, vcc
	v_mov_b32_e32 v4, s3
	v_add_co_u32_e32 v2, vcc, s2, v2
	s_cselect_b64 s[0:1], -1, 0
	v_addc_co_u32_e32 v3, vcc, v4, v3, vcc
	v_cndmask_b32_e64 v4, 0, 1, s[0:1]
	v_mov_b32_e32 v9, 1.0
	v_mov_b32_e32 v11, 0x7f800000
	v_mov_b32_e32 v10, 0xff800000
	s_mov_b64 s[2:3], 0
	v_cmp_ne_u32_e64 s[0:1], 1, v4
	s_mov_b32 s15, 0x800000
	s_mov_b32 s16, 0x3f317217
	;; [unrolled: 1-line block ×3, first 2 shown]
	v_mov_b32_e32 v8, 0x41b17218
	s_branch .LBB0_6
.LBB0_3:                                ;   in Loop: Header=BB0_6 Depth=1
	s_or_b64 exec, exec, s[12:13]
	v_mov_b32_e32 v5, v11
	v_mov_b32_e32 v10, v9
.LBB0_4:                                ;   in Loop: Header=BB0_6 Depth=1
	s_or_b64 exec, exec, s[6:7]
	s_add_i32 s14, s14, 1
	s_cmp_eq_u32 s14, s9
	s_cselect_b64 s[6:7], -1, 0
	s_orn2_b64 s[6:7], s[6:7], exec
	v_mov_b32_e32 v9, v4
	v_mov_b32_e32 v11, v5
.LBB0_5:                                ;   in Loop: Header=BB0_6 Depth=1
	s_or_b64 exec, exec, s[4:5]
	s_and_b64 s[4:5], exec, s[6:7]
	s_or_b64 s[2:3], s[4:5], s[2:3]
	s_andn2_b64 exec, exec, s[2:3]
	s_cbranch_execz .LBB0_25
.LBB0_6:                                ; =>This Loop Header: Depth=1
                                        ;     Child Loop BB0_8 Depth 2
                                        ;     Child Loop BB0_11 Depth 2
	v_bfrev_b32_e32 v12, 44
	s_and_b64 vcc, exec, s[0:1]
	s_cbranch_vccnz .LBB0_9
; %bb.7:                                ;   in Loop: Header=BB0_6 Depth=1
	v_mov_b32_e32 v5, v3
	v_mov_b32_e32 v7, v1
	;; [unrolled: 1-line block ×4, first 2 shown]
	s_mov_b32 s4, s11
.LBB0_8:                                ;   Parent Loop BB0_6 Depth=1
                                        ; =>  This Inner Loop Header: Depth=2
	global_load_dword v13, v[6:7], off
	v_add_co_u32_e32 v6, vcc, 4, v6
	v_addc_co_u32_e32 v7, vcc, 0, v7, vcc
	s_add_i32 s4, s4, -1
	s_cmp_eq_u32 s4, 0
	s_waitcnt vmcnt(0)
	v_mul_f32_e32 v13, v9, v13
	v_mul_f32_e32 v13, 0xbfb8aa3b, v13
	v_exp_f32_e32 v13, v13
	global_store_dword v[4:5], v13, off
	v_add_co_u32_e32 v4, vcc, 4, v4
	v_add_f32_e32 v12, v12, v13
	v_addc_co_u32_e32 v5, vcc, 0, v5, vcc
	s_cbranch_scc0 .LBB0_8
.LBB0_9:                                ;   in Loop: Header=BB0_6 Depth=1
	s_and_b64 vcc, exec, s[0:1]
	s_cbranch_vccnz .LBB0_12
; %bb.10:                               ;   in Loop: Header=BB0_6 Depth=1
	v_div_scale_f32 v4, s[4:5], v12, v12, 1.0
	v_div_scale_f32 v5, vcc, 1.0, v12, 1.0
	s_mov_b32 s4, s11
	v_rcp_f32_e32 v6, v4
	v_fma_f32 v7, -v4, v6, 1.0
	v_fmac_f32_e32 v6, v7, v6
	v_mul_f32_e32 v7, v5, v6
	v_fma_f32 v13, -v4, v7, v5
	v_fmac_f32_e32 v7, v13, v6
	v_fma_f32 v4, -v4, v7, v5
	v_div_fmas_f32 v14, v4, v6, v7
	v_mov_b32_e32 v5, v1
	v_mov_b32_e32 v7, v3
	;; [unrolled: 1-line block ×5, first 2 shown]
	v_div_fixup_f32 v14, v14, v12, 1.0
.LBB0_11:                               ;   Parent Loop BB0_6 Depth=1
                                        ; =>  This Inner Loop Header: Depth=2
	global_load_dword v15, v[6:7], off
	global_load_dword v16, v[4:5], off
	s_add_i32 s4, s4, -1
	s_cmp_eq_u32 s4, 0
	s_waitcnt vmcnt(1)
	v_mul_f32_e32 v15, v14, v15
	global_store_dword v[6:7], v15, off
	v_add_co_u32_e32 v6, vcc, 4, v6
	v_addc_co_u32_e32 v7, vcc, 0, v7, vcc
	v_add_co_u32_e32 v4, vcc, 4, v4
	s_waitcnt vmcnt(1)
	v_fmac_f32_e32 v13, v15, v16
	v_addc_co_u32_e32 v5, vcc, 0, v5, vcc
	s_cbranch_scc0 .LBB0_11
	s_branch .LBB0_13
.LBB0_12:                               ;   in Loop: Header=BB0_6 Depth=1
	v_mov_b32_e32 v13, 0
.LBB0_13:                               ;   in Loop: Header=BB0_6 Depth=1
	v_cmp_gt_f32_e32 vcc, s15, v12
	v_cndmask_b32_e64 v4, 0, 32, vcc
	v_ldexp_f32 v4, v12, v4
	v_log_f32_e32 v4, v4
	v_cndmask_b32_e32 v5, 0, v8, vcc
	s_mov_b64 s[6:7], -1
	v_mul_f32_e32 v6, 0x3f317217, v4
	v_fma_f32 v6, v4, s16, -v6
	v_fmac_f32_e32 v6, 0x3377d1cf, v4
	v_fmac_f32_e32 v6, 0x3f317217, v4
	v_cmp_lt_f32_e64 vcc, |v4|, s17
	v_cndmask_b32_e32 v4, v4, v6, vcc
	v_sub_f32_e32 v4, v4, v5
	v_fmac_f32_e32 v4, v9, v13
	v_subrev_f32_e32 v4, s8, v4
	v_cmp_nle_f32_e64 s[12:13], |v4|, s10
	s_and_saveexec_b64 s[4:5], s[12:13]
	s_cbranch_execz .LBB0_5
; %bb.14:                               ;   in Loop: Header=BB0_6 Depth=1
	v_cmp_nlt_f32_e32 vcc, 0, v4
                                        ; implicit-def: $vgpr4
	s_and_saveexec_b64 s[6:7], vcc
	s_xor_b64 s[6:7], exec, s[6:7]
	s_cbranch_execz .LBB0_20
; %bb.15:                               ;   in Loop: Header=BB0_6 Depth=1
	v_cmp_neq_f32_e64 s[12:13], |v10|, s17
                                        ; implicit-def: $vgpr4
	s_and_saveexec_b64 s[18:19], s[12:13]
	s_xor_b64 s[12:13], exec, s[18:19]
; %bb.16:                               ;   in Loop: Header=BB0_6 Depth=1
	v_add_f32_e32 v4, v9, v10
	v_mul_f32_e32 v4, 0.5, v4
; %bb.17:                               ;   in Loop: Header=BB0_6 Depth=1
	s_andn2_saveexec_b64 s[12:13], s[12:13]
; %bb.18:                               ;   in Loop: Header=BB0_6 Depth=1
	v_mul_f32_e32 v4, 0.5, v9
; %bb.19:                               ;   in Loop: Header=BB0_6 Depth=1
	s_or_b64 exec, exec, s[12:13]
                                        ; implicit-def: $vgpr11
.LBB0_20:                               ;   in Loop: Header=BB0_6 Depth=1
	s_or_saveexec_b64 s[6:7], s[6:7]
	v_mov_b32_e32 v5, v9
	s_xor_b64 exec, exec, s[6:7]
	s_cbranch_execz .LBB0_4
; %bb.21:                               ;   in Loop: Header=BB0_6 Depth=1
	v_cmp_neq_f32_e64 s[12:13], |v11|, s17
                                        ; implicit-def: $vgpr4
	s_and_saveexec_b64 s[18:19], s[12:13]
	s_xor_b64 s[12:13], exec, s[18:19]
; %bb.22:                               ;   in Loop: Header=BB0_6 Depth=1
	v_add_f32_e32 v4, v9, v11
	v_mul_f32_e32 v4, 0.5, v4
; %bb.23:                               ;   in Loop: Header=BB0_6 Depth=1
	s_andn2_saveexec_b64 s[12:13], s[12:13]
	s_cbranch_execz .LBB0_3
; %bb.24:                               ;   in Loop: Header=BB0_6 Depth=1
	v_add_f32_e32 v4, v9, v9
	s_branch .LBB0_3
.LBB0_25:
	s_endpgm
	.section	.rodata,"a",@progbits
	.p2align	6, 0x0
	.amdhsa_kernel _Z13sigmas_kernelIifEvPKT0_PS0_ffifT_i
		.amdhsa_group_segment_fixed_size 0
		.amdhsa_private_segment_fixed_size 0
		.amdhsa_kernarg_size 296
		.amdhsa_user_sgpr_count 6
		.amdhsa_user_sgpr_private_segment_buffer 1
		.amdhsa_user_sgpr_dispatch_ptr 0
		.amdhsa_user_sgpr_queue_ptr 0
		.amdhsa_user_sgpr_kernarg_segment_ptr 1
		.amdhsa_user_sgpr_dispatch_id 0
		.amdhsa_user_sgpr_flat_scratch_init 0
		.amdhsa_user_sgpr_private_segment_size 0
		.amdhsa_uses_dynamic_stack 0
		.amdhsa_system_sgpr_private_segment_wavefront_offset 0
		.amdhsa_system_sgpr_workgroup_id_x 1
		.amdhsa_system_sgpr_workgroup_id_y 0
		.amdhsa_system_sgpr_workgroup_id_z 0
		.amdhsa_system_sgpr_workgroup_info 0
		.amdhsa_system_vgpr_workitem_id 0
		.amdhsa_next_free_vgpr 17
		.amdhsa_next_free_sgpr 20
		.amdhsa_reserve_vcc 1
		.amdhsa_reserve_flat_scratch 0
		.amdhsa_float_round_mode_32 0
		.amdhsa_float_round_mode_16_64 0
		.amdhsa_float_denorm_mode_32 3
		.amdhsa_float_denorm_mode_16_64 3
		.amdhsa_dx10_clamp 1
		.amdhsa_ieee_mode 1
		.amdhsa_fp16_overflow 0
		.amdhsa_exception_fp_ieee_invalid_op 0
		.amdhsa_exception_fp_denorm_src 0
		.amdhsa_exception_fp_ieee_div_zero 0
		.amdhsa_exception_fp_ieee_overflow 0
		.amdhsa_exception_fp_ieee_underflow 0
		.amdhsa_exception_fp_ieee_inexact 0
		.amdhsa_exception_int_div_zero 0
	.end_amdhsa_kernel
	.section	.text._Z13sigmas_kernelIifEvPKT0_PS0_ffifT_i,"axG",@progbits,_Z13sigmas_kernelIifEvPKT0_PS0_ffifT_i,comdat
.Lfunc_end0:
	.size	_Z13sigmas_kernelIifEvPKT0_PS0_ffifT_i, .Lfunc_end0-_Z13sigmas_kernelIifEvPKT0_PS0_ffifT_i
                                        ; -- End function
	.set _Z13sigmas_kernelIifEvPKT0_PS0_ffifT_i.num_vgpr, 17
	.set _Z13sigmas_kernelIifEvPKT0_PS0_ffifT_i.num_agpr, 0
	.set _Z13sigmas_kernelIifEvPKT0_PS0_ffifT_i.numbered_sgpr, 20
	.set _Z13sigmas_kernelIifEvPKT0_PS0_ffifT_i.num_named_barrier, 0
	.set _Z13sigmas_kernelIifEvPKT0_PS0_ffifT_i.private_seg_size, 0
	.set _Z13sigmas_kernelIifEvPKT0_PS0_ffifT_i.uses_vcc, 1
	.set _Z13sigmas_kernelIifEvPKT0_PS0_ffifT_i.uses_flat_scratch, 0
	.set _Z13sigmas_kernelIifEvPKT0_PS0_ffifT_i.has_dyn_sized_stack, 0
	.set _Z13sigmas_kernelIifEvPKT0_PS0_ffifT_i.has_recursion, 0
	.set _Z13sigmas_kernelIifEvPKT0_PS0_ffifT_i.has_indirect_call, 0
	.section	.AMDGPU.csdata,"",@progbits
; Kernel info:
; codeLenInByte = 768
; TotalNumSgprs: 24
; NumVgprs: 17
; ScratchSize: 0
; MemoryBound: 0
; FloatMode: 240
; IeeeMode: 1
; LDSByteSize: 0 bytes/workgroup (compile time only)
; SGPRBlocks: 2
; VGPRBlocks: 4
; NumSGPRsForWavesPerEU: 24
; NumVGPRsForWavesPerEU: 17
; Occupancy: 10
; WaveLimiterHint : 0
; COMPUTE_PGM_RSRC2:SCRATCH_EN: 0
; COMPUTE_PGM_RSRC2:USER_SGPR: 6
; COMPUTE_PGM_RSRC2:TRAP_HANDLER: 0
; COMPUTE_PGM_RSRC2:TGID_X_EN: 1
; COMPUTE_PGM_RSRC2:TGID_Y_EN: 0
; COMPUTE_PGM_RSRC2:TGID_Z_EN: 0
; COMPUTE_PGM_RSRC2:TIDIG_COMP_CNT: 0
	.section	.AMDGPU.gpr_maximums,"",@progbits
	.set amdgpu.max_num_vgpr, 0
	.set amdgpu.max_num_agpr, 0
	.set amdgpu.max_num_sgpr, 0
	.section	.AMDGPU.csdata,"",@progbits
	.type	__hip_cuid_984d0f01ed3021db,@object ; @__hip_cuid_984d0f01ed3021db
	.section	.bss,"aw",@nobits
	.globl	__hip_cuid_984d0f01ed3021db
__hip_cuid_984d0f01ed3021db:
	.byte	0                               ; 0x0
	.size	__hip_cuid_984d0f01ed3021db, 1

	.ident	"AMD clang version 22.0.0git (https://github.com/RadeonOpenCompute/llvm-project roc-7.2.4 26084 f58b06dce1f9c15707c5f808fd002e18c2accf7e)"
	.section	".note.GNU-stack","",@progbits
	.addrsig
	.addrsig_sym __hip_cuid_984d0f01ed3021db
	.amdgpu_metadata
---
amdhsa.kernels:
  - .args:
      - .actual_access:  read_only
        .address_space:  global
        .offset:         0
        .size:           8
        .value_kind:     global_buffer
      - .address_space:  global
        .offset:         8
        .size:           8
        .value_kind:     global_buffer
      - .offset:         16
        .size:           4
        .value_kind:     by_value
      - .offset:         20
        .size:           4
        .value_kind:     by_value
      - .offset:         24
        .size:           4
        .value_kind:     by_value
      - .offset:         28
        .size:           4
        .value_kind:     by_value
      - .offset:         32
        .size:           4
        .value_kind:     by_value
      - .offset:         36
        .size:           4
        .value_kind:     by_value
      - .offset:         40
        .size:           4
        .value_kind:     hidden_block_count_x
      - .offset:         44
        .size:           4
        .value_kind:     hidden_block_count_y
      - .offset:         48
        .size:           4
        .value_kind:     hidden_block_count_z
      - .offset:         52
        .size:           2
        .value_kind:     hidden_group_size_x
      - .offset:         54
        .size:           2
        .value_kind:     hidden_group_size_y
      - .offset:         56
        .size:           2
        .value_kind:     hidden_group_size_z
      - .offset:         58
        .size:           2
        .value_kind:     hidden_remainder_x
      - .offset:         60
        .size:           2
        .value_kind:     hidden_remainder_y
      - .offset:         62
        .size:           2
        .value_kind:     hidden_remainder_z
      - .offset:         80
        .size:           8
        .value_kind:     hidden_global_offset_x
      - .offset:         88
        .size:           8
        .value_kind:     hidden_global_offset_y
      - .offset:         96
        .size:           8
        .value_kind:     hidden_global_offset_z
      - .offset:         104
        .size:           2
        .value_kind:     hidden_grid_dims
    .group_segment_fixed_size: 0
    .kernarg_segment_align: 8
    .kernarg_segment_size: 296
    .language:       OpenCL C
    .language_version:
      - 2
      - 0
    .max_flat_workgroup_size: 1024
    .name:           _Z13sigmas_kernelIifEvPKT0_PS0_ffifT_i
    .private_segment_fixed_size: 0
    .sgpr_count:     24
    .sgpr_spill_count: 0
    .symbol:         _Z13sigmas_kernelIifEvPKT0_PS0_ffifT_i.kd
    .uniform_work_group_size: 1
    .uses_dynamic_stack: false
    .vgpr_count:     17
    .vgpr_spill_count: 0
    .wavefront_size: 64
amdhsa.target:   amdgcn-amd-amdhsa--gfx906
amdhsa.version:
  - 1
  - 2
...

	.end_amdgpu_metadata
